;; amdgpu-corpus repo=ROCm/rocFFT kind=compiled arch=gfx906 opt=O3
	.text
	.amdgcn_target "amdgcn-amd-amdhsa--gfx906"
	.amdhsa_code_object_version 6
	.protected	fft_rtc_back_len2304_factors_6_6_4_4_4_wgs_192_tpt_192_halfLds_sp_ip_CI_unitstride_sbrr_C2R_dirReg ; -- Begin function fft_rtc_back_len2304_factors_6_6_4_4_4_wgs_192_tpt_192_halfLds_sp_ip_CI_unitstride_sbrr_C2R_dirReg
	.globl	fft_rtc_back_len2304_factors_6_6_4_4_4_wgs_192_tpt_192_halfLds_sp_ip_CI_unitstride_sbrr_C2R_dirReg
	.p2align	8
	.type	fft_rtc_back_len2304_factors_6_6_4_4_4_wgs_192_tpt_192_halfLds_sp_ip_CI_unitstride_sbrr_C2R_dirReg,@function
fft_rtc_back_len2304_factors_6_6_4_4_4_wgs_192_tpt_192_halfLds_sp_ip_CI_unitstride_sbrr_C2R_dirReg: ; @fft_rtc_back_len2304_factors_6_6_4_4_4_wgs_192_tpt_192_halfLds_sp_ip_CI_unitstride_sbrr_C2R_dirReg
; %bb.0:
	s_load_dwordx2 s[2:3], s[4:5], 0x50
	s_load_dwordx4 s[8:11], s[4:5], 0x0
	s_load_dwordx2 s[12:13], s[4:5], 0x18
	v_mul_u32_u24_e32 v1, 0x156, v0
	v_add_u32_sdwa v5, s6, v1 dst_sel:DWORD dst_unused:UNUSED_PAD src0_sel:DWORD src1_sel:WORD_1
	v_mov_b32_e32 v3, 0
	s_waitcnt lgkmcnt(0)
	v_cmp_lt_u64_e64 s[0:1], s[10:11], 2
	v_mov_b32_e32 v1, 0
	v_mov_b32_e32 v6, v3
	s_and_b64 vcc, exec, s[0:1]
	v_mov_b32_e32 v2, 0
	s_cbranch_vccnz .LBB0_8
; %bb.1:
	s_load_dwordx2 s[0:1], s[4:5], 0x10
	s_add_u32 s6, s12, 8
	s_addc_u32 s7, s13, 0
	v_mov_b32_e32 v1, 0
	v_mov_b32_e32 v2, 0
	s_waitcnt lgkmcnt(0)
	s_add_u32 s14, s0, 8
	s_addc_u32 s15, s1, 0
	s_mov_b64 s[16:17], 1
.LBB0_2:                                ; =>This Inner Loop Header: Depth=1
	s_load_dwordx2 s[18:19], s[14:15], 0x0
                                        ; implicit-def: $vgpr7_vgpr8
	s_waitcnt lgkmcnt(0)
	v_or_b32_e32 v4, s19, v6
	v_cmp_ne_u64_e32 vcc, 0, v[3:4]
	s_and_saveexec_b64 s[0:1], vcc
	s_xor_b64 s[20:21], exec, s[0:1]
	s_cbranch_execz .LBB0_4
; %bb.3:                                ;   in Loop: Header=BB0_2 Depth=1
	v_cvt_f32_u32_e32 v4, s18
	v_cvt_f32_u32_e32 v7, s19
	s_sub_u32 s0, 0, s18
	s_subb_u32 s1, 0, s19
	v_mac_f32_e32 v4, 0x4f800000, v7
	v_rcp_f32_e32 v4, v4
	v_mul_f32_e32 v4, 0x5f7ffffc, v4
	v_mul_f32_e32 v7, 0x2f800000, v4
	v_trunc_f32_e32 v7, v7
	v_mac_f32_e32 v4, 0xcf800000, v7
	v_cvt_u32_f32_e32 v7, v7
	v_cvt_u32_f32_e32 v4, v4
	v_mul_lo_u32 v8, s0, v7
	v_mul_hi_u32 v9, s0, v4
	v_mul_lo_u32 v11, s1, v4
	v_mul_lo_u32 v10, s0, v4
	v_add_u32_e32 v8, v9, v8
	v_add_u32_e32 v8, v8, v11
	v_mul_hi_u32 v9, v4, v10
	v_mul_lo_u32 v11, v4, v8
	v_mul_hi_u32 v13, v4, v8
	v_mul_hi_u32 v12, v7, v10
	v_mul_lo_u32 v10, v7, v10
	v_mul_hi_u32 v14, v7, v8
	v_add_co_u32_e32 v9, vcc, v9, v11
	v_addc_co_u32_e32 v11, vcc, 0, v13, vcc
	v_mul_lo_u32 v8, v7, v8
	v_add_co_u32_e32 v9, vcc, v9, v10
	v_addc_co_u32_e32 v9, vcc, v11, v12, vcc
	v_addc_co_u32_e32 v10, vcc, 0, v14, vcc
	v_add_co_u32_e32 v8, vcc, v9, v8
	v_addc_co_u32_e32 v9, vcc, 0, v10, vcc
	v_add_co_u32_e32 v4, vcc, v4, v8
	v_addc_co_u32_e32 v7, vcc, v7, v9, vcc
	v_mul_lo_u32 v8, s0, v7
	v_mul_hi_u32 v9, s0, v4
	v_mul_lo_u32 v10, s1, v4
	v_mul_lo_u32 v11, s0, v4
	v_add_u32_e32 v8, v9, v8
	v_add_u32_e32 v8, v8, v10
	v_mul_lo_u32 v12, v4, v8
	v_mul_hi_u32 v13, v4, v11
	v_mul_hi_u32 v14, v4, v8
	;; [unrolled: 1-line block ×3, first 2 shown]
	v_mul_lo_u32 v11, v7, v11
	v_mul_hi_u32 v9, v7, v8
	v_add_co_u32_e32 v12, vcc, v13, v12
	v_addc_co_u32_e32 v13, vcc, 0, v14, vcc
	v_mul_lo_u32 v8, v7, v8
	v_add_co_u32_e32 v11, vcc, v12, v11
	v_addc_co_u32_e32 v10, vcc, v13, v10, vcc
	v_addc_co_u32_e32 v9, vcc, 0, v9, vcc
	v_add_co_u32_e32 v8, vcc, v10, v8
	v_addc_co_u32_e32 v9, vcc, 0, v9, vcc
	v_add_co_u32_e32 v4, vcc, v4, v8
	v_addc_co_u32_e32 v9, vcc, v7, v9, vcc
	v_mad_u64_u32 v[7:8], s[0:1], v5, v9, 0
	v_mul_hi_u32 v10, v5, v4
	v_add_co_u32_e32 v11, vcc, v10, v7
	v_addc_co_u32_e32 v12, vcc, 0, v8, vcc
	v_mad_u64_u32 v[7:8], s[0:1], v6, v4, 0
	v_mad_u64_u32 v[9:10], s[0:1], v6, v9, 0
	v_add_co_u32_e32 v4, vcc, v11, v7
	v_addc_co_u32_e32 v4, vcc, v12, v8, vcc
	v_addc_co_u32_e32 v7, vcc, 0, v10, vcc
	v_add_co_u32_e32 v4, vcc, v4, v9
	v_addc_co_u32_e32 v9, vcc, 0, v7, vcc
	v_mul_lo_u32 v10, s19, v4
	v_mul_lo_u32 v11, s18, v9
	v_mad_u64_u32 v[7:8], s[0:1], s18, v4, 0
	v_add3_u32 v8, v8, v11, v10
	v_sub_u32_e32 v10, v6, v8
	v_mov_b32_e32 v11, s19
	v_sub_co_u32_e32 v7, vcc, v5, v7
	v_subb_co_u32_e64 v10, s[0:1], v10, v11, vcc
	v_subrev_co_u32_e64 v11, s[0:1], s18, v7
	v_subbrev_co_u32_e64 v10, s[0:1], 0, v10, s[0:1]
	v_cmp_le_u32_e64 s[0:1], s19, v10
	v_cndmask_b32_e64 v12, 0, -1, s[0:1]
	v_cmp_le_u32_e64 s[0:1], s18, v11
	v_cndmask_b32_e64 v11, 0, -1, s[0:1]
	v_cmp_eq_u32_e64 s[0:1], s19, v10
	v_cndmask_b32_e64 v10, v12, v11, s[0:1]
	v_add_co_u32_e64 v11, s[0:1], 2, v4
	v_addc_co_u32_e64 v12, s[0:1], 0, v9, s[0:1]
	v_add_co_u32_e64 v13, s[0:1], 1, v4
	v_addc_co_u32_e64 v14, s[0:1], 0, v9, s[0:1]
	v_subb_co_u32_e32 v8, vcc, v6, v8, vcc
	v_cmp_ne_u32_e64 s[0:1], 0, v10
	v_cmp_le_u32_e32 vcc, s19, v8
	v_cndmask_b32_e64 v10, v14, v12, s[0:1]
	v_cndmask_b32_e64 v12, 0, -1, vcc
	v_cmp_le_u32_e32 vcc, s18, v7
	v_cndmask_b32_e64 v7, 0, -1, vcc
	v_cmp_eq_u32_e32 vcc, s19, v8
	v_cndmask_b32_e32 v7, v12, v7, vcc
	v_cmp_ne_u32_e32 vcc, 0, v7
	v_cndmask_b32_e64 v7, v13, v11, s[0:1]
	v_cndmask_b32_e32 v8, v9, v10, vcc
	v_cndmask_b32_e32 v7, v4, v7, vcc
.LBB0_4:                                ;   in Loop: Header=BB0_2 Depth=1
	s_andn2_saveexec_b64 s[0:1], s[20:21]
	s_cbranch_execz .LBB0_6
; %bb.5:                                ;   in Loop: Header=BB0_2 Depth=1
	v_cvt_f32_u32_e32 v4, s18
	s_sub_i32 s20, 0, s18
	v_rcp_iflag_f32_e32 v4, v4
	v_mul_f32_e32 v4, 0x4f7ffffe, v4
	v_cvt_u32_f32_e32 v4, v4
	v_mul_lo_u32 v7, s20, v4
	v_mul_hi_u32 v7, v4, v7
	v_add_u32_e32 v4, v4, v7
	v_mul_hi_u32 v4, v5, v4
	v_mul_lo_u32 v7, v4, s18
	v_add_u32_e32 v8, 1, v4
	v_sub_u32_e32 v7, v5, v7
	v_subrev_u32_e32 v9, s18, v7
	v_cmp_le_u32_e32 vcc, s18, v7
	v_cndmask_b32_e32 v7, v7, v9, vcc
	v_cndmask_b32_e32 v4, v4, v8, vcc
	v_add_u32_e32 v8, 1, v4
	v_cmp_le_u32_e32 vcc, s18, v7
	v_cndmask_b32_e32 v7, v4, v8, vcc
	v_mov_b32_e32 v8, v3
.LBB0_6:                                ;   in Loop: Header=BB0_2 Depth=1
	s_or_b64 exec, exec, s[0:1]
	v_mul_lo_u32 v4, v8, s18
	v_mul_lo_u32 v11, v7, s19
	v_mad_u64_u32 v[9:10], s[0:1], v7, s18, 0
	s_load_dwordx2 s[0:1], s[6:7], 0x0
	s_add_u32 s16, s16, 1
	v_add3_u32 v4, v10, v11, v4
	v_sub_co_u32_e32 v5, vcc, v5, v9
	v_subb_co_u32_e32 v4, vcc, v6, v4, vcc
	s_waitcnt lgkmcnt(0)
	v_mul_lo_u32 v4, s0, v4
	v_mul_lo_u32 v6, s1, v5
	v_mad_u64_u32 v[1:2], s[0:1], s0, v5, v[1:2]
	s_addc_u32 s17, s17, 0
	s_add_u32 s6, s6, 8
	v_add3_u32 v2, v6, v2, v4
	v_mov_b32_e32 v4, s10
	v_mov_b32_e32 v5, s11
	s_addc_u32 s7, s7, 0
	v_cmp_ge_u64_e32 vcc, s[16:17], v[4:5]
	s_add_u32 s14, s14, 8
	s_addc_u32 s15, s15, 0
	s_cbranch_vccnz .LBB0_9
; %bb.7:                                ;   in Loop: Header=BB0_2 Depth=1
	v_mov_b32_e32 v5, v7
	v_mov_b32_e32 v6, v8
	s_branch .LBB0_2
.LBB0_8:
	v_mov_b32_e32 v8, v6
	v_mov_b32_e32 v7, v5
.LBB0_9:
	s_lshl_b64 s[0:1], s[10:11], 3
	s_add_u32 s0, s12, s0
	s_addc_u32 s1, s13, s1
	s_load_dwordx2 s[6:7], s[0:1], 0x0
	s_load_dwordx2 s[10:11], s[4:5], 0x20
	s_waitcnt lgkmcnt(0)
	v_mad_u64_u32 v[1:2], s[0:1], s6, v7, v[1:2]
	v_mul_lo_u32 v3, s6, v8
	v_mul_lo_u32 v4, s7, v7
	s_mov_b32 s0, 0x1555556
	v_mul_hi_u32 v5, v0, s0
	v_cmp_gt_u64_e64 s[0:1], s[10:11], v[7:8]
	v_add3_u32 v2, v4, v2, v3
	v_lshlrev_b64 v[2:3], 3, v[1:2]
	v_mul_u32_u24_e32 v4, 0xc0, v5
	v_sub_u32_e32 v0, v0, v4
	s_and_saveexec_b64 s[4:5], s[0:1]
	s_cbranch_execz .LBB0_13
; %bb.10:
	v_mov_b32_e32 v1, 0
	v_mov_b32_e32 v4, s3
	v_add_co_u32_e32 v5, vcc, s2, v2
	v_lshlrev_b64 v[6:7], 3, v[0:1]
	v_addc_co_u32_e32 v4, vcc, v4, v3, vcc
	v_add_co_u32_e32 v6, vcc, v5, v6
	v_addc_co_u32_e32 v7, vcc, v4, v7, vcc
	s_movk_i32 s6, 0x1000
	v_add_co_u32_e32 v8, vcc, s6, v6
	s_movk_i32 s7, 0x2000
	v_addc_co_u32_e32 v9, vcc, 0, v7, vcc
	v_or_b32_e32 v22, 0x300, v0
	v_mov_b32_e32 v23, v1
	v_add_co_u32_e32 v18, vcc, s7, v6
	v_lshlrev_b64 v[22:23], 3, v[22:23]
	v_addc_co_u32_e32 v19, vcc, 0, v7, vcc
	v_or_b32_e32 v24, 0x600, v0
	v_mov_b32_e32 v25, v1
	v_add_co_u32_e32 v22, vcc, v5, v22
	v_lshlrev_b64 v[24:25], 3, v[24:25]
	v_addc_co_u32_e32 v23, vcc, v4, v23, vcc
	v_add_co_u32_e32 v24, vcc, v5, v24
	v_addc_co_u32_e32 v25, vcc, v4, v25, vcc
	s_movk_i32 s6, 0x3000
	v_add_co_u32_e32 v26, vcc, s6, v6
	v_addc_co_u32_e32 v27, vcc, 0, v7, vcc
	global_load_dwordx2 v[10:11], v[6:7], off
	global_load_dwordx2 v[12:13], v[6:7], off offset:1536
	global_load_dwordx2 v[14:15], v[6:7], off offset:3072
	;; [unrolled: 1-line block ×3, first 2 shown]
	v_add_co_u32_e32 v6, vcc, 0x4000, v6
	global_load_dwordx2 v[20:21], v[18:19], off offset:2560
	global_load_dwordx2 v[28:29], v[18:19], off offset:1024
	global_load_dwordx2 v[30:31], v[22:23], off
	global_load_dwordx2 v[32:33], v[8:9], off offset:3584
	v_addc_co_u32_e32 v7, vcc, 0, v7, vcc
	global_load_dwordx2 v[8:9], v[24:25], off
	global_load_dwordx2 v[18:19], v[26:27], off offset:1536
	global_load_dwordx2 v[22:23], v[26:27], off offset:3072
	;; [unrolled: 1-line block ×3, first 2 shown]
	s_movk_i32 s6, 0xbf
	v_lshl_add_u32 v6, v0, 3, 0
	v_cmp_eq_u32_e32 vcc, s6, v0
	s_waitcnt vmcnt(10)
	ds_write2st64_b64 v6, v[10:11], v[12:13] offset1:3
	s_waitcnt vmcnt(6)
	ds_write2st64_b64 v6, v[28:29], v[20:21] offset0:18 offset1:21
	ds_write2st64_b64 v6, v[14:15], v[16:17] offset0:6 offset1:9
	s_waitcnt vmcnt(4)
	ds_write2st64_b64 v6, v[30:31], v[32:33] offset0:12 offset1:15
	s_waitcnt vmcnt(2)
	;; [unrolled: 2-line block ×3, first 2 shown]
	ds_write2st64_b64 v6, v[22:23], v[34:35] offset0:30 offset1:33
	s_and_saveexec_b64 s[6:7], vcc
	s_cbranch_execz .LBB0_12
; %bb.11:
	v_add_co_u32_e32 v5, vcc, 0x4000, v5
	v_addc_co_u32_e32 v6, vcc, 0, v4, vcc
	global_load_dwordx2 v[4:5], v[5:6], off offset:2048
	v_mov_b32_e32 v0, 0xbf
	s_waitcnt vmcnt(0)
	ds_write_b64 v1, v[4:5] offset:18432
.LBB0_12:
	s_or_b64 exec, exec, s[6:7]
.LBB0_13:
	s_or_b64 exec, exec, s[4:5]
	v_lshlrev_b32_e32 v1, 3, v0
	v_add_u32_e32 v8, 0, v1
	s_waitcnt lgkmcnt(0)
	s_barrier
	v_sub_u32_e32 v9, 0, v1
	ds_read_b32 v10, v8
	ds_read_b32 v11, v9 offset:18432
	s_add_u32 s6, s8, 0x47d0
	s_addc_u32 s7, s9, 0
	v_cmp_ne_u32_e32 vcc, 0, v0
                                        ; implicit-def: $vgpr4_vgpr5
	s_waitcnt lgkmcnt(0)
	v_add_f32_e32 v6, v11, v10
	v_sub_f32_e32 v7, v10, v11
	s_and_saveexec_b64 s[4:5], vcc
	s_xor_b64 s[4:5], exec, s[4:5]
	s_cbranch_execz .LBB0_15
; %bb.14:
	v_mov_b32_e32 v1, 0
	v_lshlrev_b64 v[4:5], 3, v[0:1]
	v_mov_b32_e32 v6, s7
	v_add_co_u32_e32 v4, vcc, s6, v4
	v_addc_co_u32_e32 v5, vcc, v6, v5, vcc
	global_load_dwordx2 v[4:5], v[4:5], off
	ds_read_b32 v6, v9 offset:18436
	ds_read_b32 v7, v8 offset:4
	v_add_f32_e32 v12, v11, v10
	v_sub_f32_e32 v13, v10, v11
	s_waitcnt lgkmcnt(0)
	v_add_f32_e32 v14, v6, v7
	v_sub_f32_e32 v6, v7, v6
	s_waitcnt vmcnt(0)
	v_fma_f32 v15, v13, v5, v12
	v_fma_f32 v7, v14, v5, v6
	v_fma_f32 v10, -v13, v5, v12
	v_fma_f32 v11, v14, v5, -v6
	v_fma_f32 v6, -v4, v14, v15
	v_fmac_f32_e32 v7, v13, v4
	v_fmac_f32_e32 v10, v4, v14
	;; [unrolled: 1-line block ×3, first 2 shown]
	v_mov_b32_e32 v5, v1
	ds_write_b64 v9, v[10:11] offset:18432
	v_mov_b32_e32 v4, v0
.LBB0_15:
	s_andn2_saveexec_b64 s[4:5], s[4:5]
	s_cbranch_execz .LBB0_17
; %bb.16:
	v_mov_b32_e32 v1, 0
	ds_read_b64 v[4:5], v1 offset:9216
	s_waitcnt lgkmcnt(0)
	v_add_f32_e32 v10, v4, v4
	v_mul_f32_e32 v11, -2.0, v5
	v_mov_b32_e32 v4, 0
	v_mov_b32_e32 v5, 0
	ds_write_b64 v1, v[10:11] offset:9216
.LBB0_17:
	s_or_b64 exec, exec, s[4:5]
	v_lshlrev_b64 v[4:5], 3, v[4:5]
	v_mov_b32_e32 v1, s7
	v_add_co_u32_e32 v4, vcc, s6, v4
	v_addc_co_u32_e32 v5, vcc, v1, v5, vcc
	global_load_dwordx2 v[10:11], v[4:5], off offset:1536
	global_load_dwordx2 v[12:13], v[4:5], off offset:3072
	s_movk_i32 s4, 0x1000
	v_add_co_u32_e32 v14, vcc, s4, v4
	v_addc_co_u32_e32 v15, vcc, 0, v5, vcc
	global_load_dwordx2 v[16:17], v[14:15], off offset:512
	v_or_b32_e32 v4, 0x300, v0
	v_mov_b32_e32 v5, 0
	v_lshlrev_b64 v[18:19], 3, v[4:5]
	ds_write_b64 v8, v[6:7]
	v_add_co_u32_e32 v18, vcc, s6, v18
	v_addc_co_u32_e32 v19, vcc, v1, v19, vcc
	global_load_dwordx2 v[18:19], v[18:19], off
	ds_read_b64 v[6:7], v8 offset:1536
	ds_read_b64 v[20:21], v9 offset:16896
	global_load_dwordx2 v[14:15], v[14:15], off offset:3584
	v_mad_u32_u24 v41, v0, 40, v8
	s_movk_i32 s5, 0xab
	s_waitcnt lgkmcnt(0)
	v_add_f32_e32 v1, v6, v20
	v_add_f32_e32 v4, v21, v7
	v_sub_f32_e32 v22, v6, v20
	v_sub_f32_e32 v20, v7, v21
	s_waitcnt vmcnt(4)
	v_fma_f32 v23, v22, v11, v1
	v_fma_f32 v21, v4, v11, v20
	v_fma_f32 v6, -v22, v11, v1
	v_fma_f32 v7, v4, v11, -v20
	v_fma_f32 v20, -v10, v4, v23
	v_fmac_f32_e32 v21, v22, v10
	v_fmac_f32_e32 v6, v10, v4
	v_fmac_f32_e32 v7, v22, v10
	ds_write_b64 v8, v[20:21] offset:1536
	ds_write_b64 v9, v[6:7] offset:16896
	ds_read_b64 v[6:7], v8 offset:3072
	ds_read_b64 v[10:11], v9 offset:15360
	s_waitcnt lgkmcnt(0)
	v_add_f32_e32 v1, v6, v10
	v_add_f32_e32 v4, v11, v7
	v_sub_f32_e32 v20, v6, v10
	v_sub_f32_e32 v10, v7, v11
	s_waitcnt vmcnt(3)
	v_fma_f32 v21, v20, v13, v1
	v_fma_f32 v11, v4, v13, v10
	v_fma_f32 v6, -v20, v13, v1
	v_fma_f32 v7, v4, v13, -v10
	v_fma_f32 v10, -v12, v4, v21
	v_fmac_f32_e32 v11, v20, v12
	v_fmac_f32_e32 v6, v12, v4
	v_fmac_f32_e32 v7, v20, v12
	ds_write_b64 v8, v[10:11] offset:3072
	ds_write_b64 v9, v[6:7] offset:15360
	ds_read_b64 v[6:7], v8 offset:4608
	ds_read_b64 v[10:11], v9 offset:13824
	;; [unrolled: 18-line block ×4, first 2 shown]
	s_waitcnt lgkmcnt(0)
	v_add_f32_e32 v1, v6, v10
	v_add_f32_e32 v4, v11, v7
	v_sub_f32_e32 v12, v6, v10
	v_sub_f32_e32 v6, v7, v11
	s_waitcnt vmcnt(0)
	v_fma_f32 v13, v12, v15, v1
	v_fma_f32 v7, v4, v15, v6
	v_fma_f32 v10, -v12, v15, v1
	v_fma_f32 v11, v4, v15, -v6
	v_fma_f32 v6, -v14, v4, v13
	v_fmac_f32_e32 v7, v12, v14
	v_fmac_f32_e32 v10, v14, v4
	;; [unrolled: 1-line block ×3, first 2 shown]
	ds_write_b64 v8, v[6:7] offset:7680
	ds_write_b64 v9, v[10:11] offset:10752
	s_waitcnt lgkmcnt(0)
	s_barrier
	s_barrier
	ds_read2st64_b64 v[9:12], v8 offset1:3
	ds_read2st64_b64 v[13:16], v8 offset0:12 offset1:15
	ds_read2st64_b64 v[17:20], v8 offset0:24 offset1:27
	;; [unrolled: 1-line block ×3, first 2 shown]
	s_waitcnt lgkmcnt(2)
	v_add_f32_e32 v1, v9, v13
	s_waitcnt lgkmcnt(1)
	v_add_f32_e32 v4, v13, v17
	v_sub_f32_e32 v29, v14, v18
	v_add_f32_e32 v6, v10, v14
	v_add_f32_e32 v7, v14, v18
	v_sub_f32_e32 v30, v13, v17
	v_add_f32_e32 v31, v11, v15
	;; [unrolled: 3-line block ×3, first 2 shown]
	v_add_f32_e32 v35, v16, v20
	v_sub_f32_e32 v36, v15, v19
	ds_read2st64_b64 v[13:16], v8 offset0:18 offset1:21
	ds_read2st64_b64 v[25:28], v8 offset0:30 offset1:33
	v_add_f32_e32 v1, v1, v17
	v_add_f32_e32 v17, v6, v18
	;; [unrolled: 1-line block ×4, first 2 shown]
	s_waitcnt lgkmcnt(0)
	v_sub_f32_e32 v31, v14, v26
	v_add_f32_e32 v34, v22, v14
	v_add_f32_e32 v14, v14, v26
	;; [unrolled: 1-line block ×3, first 2 shown]
	v_fma_f32 v14, -0.5, v14, v22
	v_add_f32_e32 v6, v21, v13
	v_sub_f32_e32 v13, v13, v25
	v_add_f32_e32 v37, v23, v15
	v_fma_f32 v20, -0.5, v20, v21
	v_mov_b32_e32 v21, v14
	v_add_f32_e32 v38, v15, v27
	v_add_f32_e32 v40, v24, v16
	v_sub_f32_e32 v15, v15, v27
	v_add_f32_e32 v25, v6, v25
	v_add_f32_e32 v27, v37, v27
	v_mov_b32_e32 v6, v20
	v_fmac_f32_e32 v21, 0x3f5db3d7, v13
	v_fma_f32 v4, -0.5, v4, v9
	v_fma_f32 v37, -0.5, v7, v10
	v_sub_f32_e32 v39, v16, v28
	v_add_f32_e32 v16, v16, v28
	v_add_f32_e32 v26, v34, v26
	;; [unrolled: 1-line block ×3, first 2 shown]
	v_fmac_f32_e32 v6, 0xbf5db3d7, v31
	v_mul_f32_e32 v22, 0xbf5db3d7, v21
	v_mul_f32_e32 v21, 0.5, v21
	v_mov_b32_e32 v34, v4
	v_mov_b32_e32 v40, v37
	v_fmac_f32_e32 v22, 0.5, v6
	v_fmac_f32_e32 v21, 0x3f5db3d7, v6
	v_fmac_f32_e32 v34, 0xbf5db3d7, v29
	;; [unrolled: 1-line block ×3, first 2 shown]
	v_add_f32_e32 v6, v1, v25
	v_add_f32_e32 v7, v17, v26
	;; [unrolled: 1-line block ×4, first 2 shown]
	v_fmac_f32_e32 v14, 0xbf5db3d7, v13
	s_barrier
	ds_write2_b64 v41, v[6:7], v[9:10] offset1:1
	v_sub_f32_e32 v6, v1, v25
	v_fmac_f32_e32 v20, 0x3f5db3d7, v31
	v_mul_f32_e32 v1, 0xbf5db3d7, v14
	v_mul_f32_e32 v13, -0.5, v14
	v_fmac_f32_e32 v4, 0x3f5db3d7, v29
	v_fmac_f32_e32 v37, 0xbf5db3d7, v30
	v_fmac_f32_e32 v1, -0.5, v20
	v_fmac_f32_e32 v13, 0x3f5db3d7, v20
	v_sub_f32_e32 v7, v17, v26
	v_add_f32_e32 v9, v4, v1
	v_add_f32_e32 v10, v37, v13
	v_fmac_f32_e32 v24, -0.5, v16
	ds_write2_b64 v41, v[9:10], v[6:7] offset0:2 offset1:3
	v_sub_f32_e32 v6, v34, v22
	v_sub_f32_e32 v7, v40, v21
	;; [unrolled: 1-line block ×4, first 2 shown]
	v_fma_f32 v1, -0.5, v38, v23
	v_mov_b32_e32 v4, v24
	v_fmac_f32_e32 v24, 0xbf5db3d7, v15
	ds_write2_b64 v41, v[6:7], v[9:10] offset0:4 offset1:5
	v_mul_f32_e32 v9, 0xbf5db3d7, v24
	v_mul_f32_e32 v6, -0.5, v24
	v_fmac_f32_e32 v12, -0.5, v35
	v_fma_f32 v11, -0.5, v32, v11
	v_mov_b32_e32 v13, v1
	v_fmac_f32_e32 v1, 0x3f5db3d7, v39
	v_fmac_f32_e32 v4, 0x3f5db3d7, v15
	v_mov_b32_e32 v20, v12
	v_fmac_f32_e32 v6, 0x3f5db3d7, v1
	v_mov_b32_e32 v17, v11
	v_fmac_f32_e32 v13, 0xbf5db3d7, v39
	v_fmac_f32_e32 v9, -0.5, v1
	v_mul_f32_e32 v1, 0xbf5db3d7, v4
	v_mul_f32_e32 v4, 0.5, v4
	v_fmac_f32_e32 v12, 0xbf5db3d7, v36
	v_fmac_f32_e32 v17, 0xbf5db3d7, v33
	;; [unrolled: 1-line block ×4, first 2 shown]
	v_fmac_f32_e32 v1, 0.5, v13
	v_fmac_f32_e32 v4, 0x3f5db3d7, v13
	v_add_f32_e32 v7, v12, v6
	v_sub_f32_e32 v10, v12, v6
	v_add_f32_e32 v6, v11, v9
	v_sub_f32_e32 v9, v11, v9
	v_add_f32_e32 v11, v18, v27
	v_add_f32_e32 v12, v19, v28
	;; [unrolled: 1-line block ×4, first 2 shown]
	v_sub_f32_e32 v17, v17, v1
	v_add_u32_e32 v1, 0x2400, v41
	v_sub_f32_e32 v13, v18, v27
	v_sub_f32_e32 v14, v19, v28
	ds_write2_b64 v1, v[11:12], v[15:16] offset1:1
	v_add_u32_e32 v1, 0x2410, v41
	v_sub_f32_e32 v18, v20, v4
	ds_write2_b64 v1, v[6:7], v[13:14] offset1:1
	v_add_u32_e32 v1, 0x2420, v41
	ds_write2_b64 v1, v[17:18], v[9:10] offset1:1
	v_mul_lo_u16_sdwa v1, v0, s5 dst_sel:DWORD dst_unused:UNUSED_PAD src0_sel:BYTE_0 src1_sel:DWORD
	v_lshrrev_b16_e32 v4, 10, v1
	v_mul_lo_u16_e32 v1, 6, v4
	v_sub_u16_e32 v35, v0, v1
	v_mov_b32_e32 v1, 5
	v_mul_u32_u24_sdwa v1, v35, v1 dst_sel:DWORD dst_unused:UNUSED_PAD src0_sel:BYTE_0 src1_sel:DWORD
	v_lshlrev_b32_e32 v25, 3, v1
	s_mov_b32 s5, 0xaaab
	v_add_u32_e32 v1, 0xc0, v0
	s_waitcnt lgkmcnt(0)
	s_barrier
	global_load_dwordx4 v[9:12], v25, s[8:9]
	v_mul_u32_u24_sdwa v6, v1, s5 dst_sel:DWORD dst_unused:UNUSED_PAD src0_sel:WORD_0 src1_sel:DWORD
	v_lshrrev_b32_e32 v36, 18, v6
	v_mul_lo_u16_e32 v6, 6, v36
	v_sub_u16_e32 v37, v1, v6
	v_mul_u32_u24_e32 v6, 5, v37
	v_lshlrev_b32_e32 v26, 3, v6
	global_load_dwordx4 v[13:16], v26, s[8:9]
	global_load_dwordx4 v[17:20], v25, s[8:9] offset:16
	global_load_dwordx4 v[21:24], v26, s[8:9] offset:16
	global_load_dwordx2 v[6:7], v25, s[8:9] offset:32
	global_load_dwordx2 v[33:34], v26, s[8:9] offset:32
	ds_read2st64_b64 v[25:28], v8 offset0:6 offset1:9
	ds_read2st64_b64 v[29:32], v8 offset0:12 offset1:15
	v_mov_b32_e32 v40, 3
	v_mul_u32_u24_e32 v4, 0x120, v4
	s_mov_b32 s5, 0xe38f
	s_waitcnt vmcnt(5) lgkmcnt(1)
	v_mul_f32_e32 v38, v10, v26
	v_mul_f32_e32 v10, v10, v25
	v_fmac_f32_e32 v38, v9, v25
	v_fma_f32 v25, v9, v26, -v10
	s_waitcnt lgkmcnt(0)
	v_mul_f32_e32 v26, v12, v30
	v_mul_f32_e32 v9, v12, v29
	v_fmac_f32_e32 v26, v11, v29
	v_fma_f32 v29, v11, v30, -v9
	s_waitcnt vmcnt(4)
	v_mul_f32_e32 v30, v28, v14
	v_mul_f32_e32 v9, v27, v14
	v_fmac_f32_e32 v30, v27, v13
	v_fma_f32 v27, v28, v13, -v9
	ds_read2st64_b64 v[9:12], v8 offset0:18 offset1:21
	v_mul_f32_e32 v28, v32, v16
	v_mul_f32_e32 v13, v31, v16
	v_fmac_f32_e32 v28, v31, v15
	v_fma_f32 v31, v32, v15, -v13
	ds_read2st64_b64 v[13:16], v8 offset0:24 offset1:27
	s_waitcnt vmcnt(3) lgkmcnt(1)
	v_mul_f32_e32 v32, v18, v10
	v_fmac_f32_e32 v32, v17, v9
	v_mul_f32_e32 v9, v18, v9
	v_fma_f32 v17, v17, v10, -v9
	s_waitcnt lgkmcnt(0)
	v_mul_f32_e32 v18, v20, v14
	v_mul_f32_e32 v9, v20, v13
	v_fmac_f32_e32 v18, v19, v13
	v_fma_f32 v19, v19, v14, -v9
	s_waitcnt vmcnt(2)
	v_mul_f32_e32 v20, v12, v22
	v_mul_f32_e32 v9, v11, v22
	v_fmac_f32_e32 v20, v11, v21
	v_fma_f32 v21, v12, v21, -v9
	ds_read2st64_b64 v[9:12], v8 offset0:30 offset1:33
	v_mul_f32_e32 v22, v16, v24
	v_mul_f32_e32 v13, v15, v24
	v_fmac_f32_e32 v22, v15, v23
	v_fma_f32 v23, v16, v23, -v13
	ds_read2st64_b64 v[13:16], v8 offset1:3
	s_waitcnt vmcnt(1) lgkmcnt(1)
	v_mul_f32_e32 v24, v7, v10
	v_mul_f32_e32 v7, v7, v9
	v_fmac_f32_e32 v24, v6, v9
	v_fma_f32 v6, v6, v10, -v7
	s_waitcnt vmcnt(0)
	v_mul_f32_e32 v39, v12, v34
	v_mul_f32_e32 v7, v11, v34
	v_fmac_f32_e32 v39, v11, v33
	v_fma_f32 v11, v12, v33, -v7
	s_waitcnt lgkmcnt(0)
	v_add_f32_e32 v7, v14, v29
	v_add_f32_e32 v9, v13, v26
	;; [unrolled: 1-line block ×3, first 2 shown]
	v_sub_f32_e32 v33, v29, v19
	v_add_f32_e32 v7, v29, v19
	v_add_f32_e32 v19, v9, v18
	;; [unrolled: 1-line block ×3, first 2 shown]
	v_sub_f32_e32 v18, v26, v18
	v_add_f32_e32 v26, v32, v24
	v_add_f32_e32 v10, v38, v32
	v_fmac_f32_e32 v38, -0.5, v26
	v_add_f32_e32 v26, v25, v17
	v_add_f32_e32 v26, v26, v6
	v_sub_f32_e32 v29, v17, v6
	v_add_f32_e32 v6, v17, v6
	v_fmac_f32_e32 v25, -0.5, v6
	v_add_f32_e32 v17, v10, v24
	v_sub_f32_e32 v24, v32, v24
	v_mov_b32_e32 v10, v25
	v_mov_b32_e32 v6, v38
	v_fmac_f32_e32 v10, 0x3f5db3d7, v24
	v_fmac_f32_e32 v6, 0xbf5db3d7, v29
	v_mul_f32_e32 v32, 0xbf5db3d7, v10
	v_mul_f32_e32 v34, 0.5, v10
	v_fma_f32 v13, -0.5, v9, v13
	v_fma_f32 v14, -0.5, v7, v14
	v_fmac_f32_e32 v32, 0.5, v6
	v_fmac_f32_e32 v34, 0x3f5db3d7, v6
	v_lshlrev_b32_sdwa v6, v40, v35 dst_sel:DWORD dst_unused:UNUSED_PAD src0_sel:DWORD src1_sel:BYTE_0
	v_mov_b32_e32 v35, v13
	v_mov_b32_e32 v41, v14
	v_fmac_f32_e32 v35, 0xbf5db3d7, v33
	v_fmac_f32_e32 v41, 0x3f5db3d7, v18
	v_add3_u32 v4, 0, v4, v6
	v_add_f32_e32 v6, v19, v17
	v_add_f32_e32 v7, v12, v26
	;; [unrolled: 1-line block ×4, first 2 shown]
	v_fmac_f32_e32 v25, 0xbf5db3d7, v24
	s_barrier
	ds_write2_b64 v4, v[6:7], v[9:10] offset1:6
	v_sub_f32_e32 v6, v19, v17
	v_sub_f32_e32 v7, v12, v26
	v_fmac_f32_e32 v38, 0x3f5db3d7, v29
	v_mul_f32_e32 v12, 0xbf5db3d7, v25
	v_mul_f32_e32 v17, -0.5, v25
	v_fmac_f32_e32 v13, 0x3f5db3d7, v33
	v_fmac_f32_e32 v14, 0xbf5db3d7, v18
	v_fmac_f32_e32 v12, -0.5, v38
	v_fmac_f32_e32 v17, 0x3f5db3d7, v38
	v_add_f32_e32 v9, v13, v12
	v_add_f32_e32 v10, v14, v17
	ds_write2_b64 v4, v[9:10], v[6:7] offset0:12 offset1:18
	v_sub_f32_e32 v6, v35, v32
	v_sub_f32_e32 v7, v41, v34
	;; [unrolled: 1-line block ×4, first 2 shown]
	ds_write2_b64 v4, v[6:7], v[9:10] offset0:24 offset1:30
	v_add_f32_e32 v6, v31, v23
	v_add_f32_e32 v4, v16, v31
	v_fmac_f32_e32 v16, -0.5, v6
	v_add_f32_e32 v6, v20, v39
	v_add_f32_e32 v12, v30, v20
	v_fmac_f32_e32 v30, -0.5, v6
	;; [unrolled: 3-line block ×3, first 2 shown]
	v_sub_f32_e32 v20, v20, v39
	v_add_f32_e32 v6, v28, v22
	v_sub_f32_e32 v17, v21, v11
	v_mov_b32_e32 v21, v27
	v_fmac_f32_e32 v27, 0xbf5db3d7, v20
	v_fma_f32 v9, -0.5, v6, v15
	v_add_f32_e32 v14, v15, v28
	v_sub_f32_e32 v15, v28, v22
	v_mov_b32_e32 v19, v30
	v_fmac_f32_e32 v30, 0x3f5db3d7, v17
	v_mul_f32_e32 v6, -0.5, v27
	v_mov_b32_e32 v18, v16
	v_fmac_f32_e32 v16, 0xbf5db3d7, v15
	v_fmac_f32_e32 v6, 0x3f5db3d7, v30
	v_add_f32_e32 v7, v16, v6
	v_sub_f32_e32 v10, v16, v6
	v_mul_f32_e32 v16, 0xbf5db3d7, v27
	v_sub_f32_e32 v24, v31, v23
	v_fmac_f32_e32 v16, -0.5, v30
	v_mov_b32_e32 v25, v9
	v_fmac_f32_e32 v9, 0x3f5db3d7, v24
	v_add_f32_e32 v6, v9, v16
	v_sub_f32_e32 v9, v9, v16
	v_add_f32_e32 v14, v14, v22
	v_add_f32_e32 v4, v4, v23
	v_add_f32_e32 v16, v12, v39
	v_add_f32_e32 v22, v13, v11
	v_fmac_f32_e32 v21, 0x3f5db3d7, v20
	v_add_f32_e32 v11, v14, v16
	v_add_f32_e32 v12, v4, v22
	v_sub_f32_e32 v13, v14, v16
	v_sub_f32_e32 v14, v4, v22
	v_fmac_f32_e32 v19, 0xbf5db3d7, v17
	v_mul_f32_e32 v4, 0xbf5db3d7, v21
	v_fmac_f32_e32 v25, 0xbf5db3d7, v24
	v_fmac_f32_e32 v4, 0.5, v19
	v_mul_f32_e32 v20, 0.5, v21
	v_fmac_f32_e32 v18, 0x3f5db3d7, v15
	v_fmac_f32_e32 v20, 0x3f5db3d7, v19
	v_add_f32_e32 v15, v25, v4
	v_sub_f32_e32 v17, v25, v4
	v_mul_u32_u24_e32 v4, 0x120, v36
	v_lshlrev_b32_e32 v19, 3, v37
	v_add_f32_e32 v16, v18, v20
	v_add3_u32 v4, 0, v4, v19
	v_sub_f32_e32 v18, v18, v20
	ds_write2_b64 v4, v[11:12], v[15:16] offset1:6
	ds_write2_b64 v4, v[6:7], v[13:14] offset0:12 offset1:18
	ds_write2_b64 v4, v[17:18], v[9:10] offset0:24 offset1:30
	v_mul_u32_u24_sdwa v4, v1, s5 dst_sel:DWORD dst_unused:UNUSED_PAD src0_sel:WORD_0 src1_sel:DWORD
	v_add_u32_e32 v35, 0x180, v0
	v_lshrrev_b32_e32 v33, 21, v4
	v_mul_u32_u24_sdwa v36, v35, s5 dst_sel:DWORD dst_unused:UNUSED_PAD src0_sel:WORD_0 src1_sel:DWORD
	v_mul_lo_u16_e32 v6, 36, v33
	v_lshrrev_b32_e32 v37, 21, v36
	v_sub_u16_e32 v34, v1, v6
	v_mul_lo_u16_e32 v9, 36, v37
	v_mul_u32_u24_e32 v6, 3, v34
	v_sub_u16_e32 v38, v35, v9
	v_lshlrev_b32_e32 v21, 3, v6
	v_mul_u32_u24_e32 v9, 3, v38
	s_waitcnt lgkmcnt(0)
	s_barrier
	global_load_dwordx2 v[6:7], v21, s[8:9] offset:256
	v_lshlrev_b32_e32 v22, 3, v9
	global_load_dwordx2 v[29:30], v22, s[8:9] offset:256
	v_mov_b32_e32 v9, 57
	v_mul_lo_u16_sdwa v9, v0, v9 dst_sel:DWORD dst_unused:UNUSED_PAD src0_sel:BYTE_0 src1_sel:DWORD
	v_lshrrev_b16_e32 v39, 11, v9
	v_mul_lo_u16_e32 v9, 36, v39
	v_sub_u16_e32 v41, v0, v9
	v_mul_u32_u24_sdwa v9, v41, v40 dst_sel:DWORD dst_unused:UNUSED_PAD src0_sel:BYTE_0 src1_sel:DWORD
	v_lshlrev_b32_e32 v23, 3, v9
	global_load_dwordx2 v[31:32], v23, s[8:9] offset:256
	global_load_dwordx4 v[9:12], v22, s[8:9] offset:240
	global_load_dwordx4 v[13:16], v21, s[8:9] offset:240
	;; [unrolled: 1-line block ×3, first 2 shown]
	ds_read2st64_b64 v[21:24], v8 offset0:30 offset1:33
	ds_read2st64_b64 v[25:28], v8 offset0:24 offset1:27
	s_movk_i32 s5, 0x90
	v_cmp_gt_u32_e32 vcc, s5, v0
	s_movk_i32 s5, 0x8f
	s_waitcnt vmcnt(5) lgkmcnt(1)
	v_mul_f32_e32 v42, v22, v7
	v_mul_f32_e32 v7, v21, v7
	v_fmac_f32_e32 v42, v21, v6
	v_fma_f32 v43, v22, v6, -v7
	s_waitcnt vmcnt(4)
	v_mul_f32_e32 v44, v24, v30
	v_mul_f32_e32 v6, v23, v30
	v_fmac_f32_e32 v44, v23, v29
	v_fma_f32 v29, v24, v29, -v6
	ds_read2st64_b64 v[21:24], v8 offset0:12 offset1:15
	s_waitcnt vmcnt(3) lgkmcnt(1)
	v_mul_f32_e32 v6, v32, v28
	v_fmac_f32_e32 v6, v31, v27
	v_mul_f32_e32 v7, v32, v27
	s_waitcnt vmcnt(2)
	v_mul_f32_e32 v27, v26, v12
	v_mul_f32_e32 v12, v25, v12
	v_fmac_f32_e32 v27, v25, v11
	v_fma_f32 v25, v26, v11, -v12
	s_waitcnt lgkmcnt(0)
	v_mul_f32_e32 v26, v24, v10
	v_mul_f32_e32 v10, v23, v10
	v_fmac_f32_e32 v26, v23, v9
	v_fma_f32 v23, v24, v9, -v10
	ds_read2st64_b64 v[9:12], v8 offset0:18 offset1:21
	s_waitcnt vmcnt(1)
	v_mul_f32_e32 v24, v14, v22
	v_mul_f32_e32 v14, v14, v21
	v_fmac_f32_e32 v24, v13, v21
	v_fma_f32 v21, v13, v22, -v14
	s_waitcnt lgkmcnt(0)
	v_mul_f32_e32 v22, v16, v12
	v_fmac_f32_e32 v22, v15, v11
	v_mul_f32_e32 v11, v16, v11
	v_fma_f32 v7, v31, v28, -v7
	v_fma_f32 v28, v15, v12, -v11
	ds_read2st64_b64 v[11:14], v8 offset0:6 offset1:9
	s_waitcnt vmcnt(0)
	v_mul_f32_e32 v30, v20, v10
	v_fmac_f32_e32 v30, v19, v9
	v_mul_f32_e32 v9, v20, v9
	v_fma_f32 v9, v19, v10, -v9
	s_waitcnt lgkmcnt(0)
	v_mul_f32_e32 v10, v18, v14
	v_fmac_f32_e32 v10, v17, v13
	v_mul_f32_e32 v13, v18, v13
	v_fma_f32 v17, v17, v14, -v13
	ds_read2st64_b64 v[13:16], v8 offset1:3
	v_sub_f32_e32 v20, v10, v6
	v_fma_f32 v6, v10, 2.0, -v20
	s_waitcnt lgkmcnt(0)
	s_barrier
	v_sub_f32_e32 v18, v13, v30
	v_sub_f32_e32 v19, v14, v9
	;; [unrolled: 1-line block ×3, first 2 shown]
	v_fma_f32 v7, v17, 2.0, -v30
	v_fma_f32 v9, v13, 2.0, -v18
	;; [unrolled: 1-line block ×3, first 2 shown]
	v_add_f32_e32 v13, v18, v30
	v_sub_f32_e32 v14, v19, v20
	v_sub_f32_e32 v6, v9, v6
	;; [unrolled: 1-line block ×3, first 2 shown]
	v_fma_f32 v17, v18, 2.0, -v13
	v_fma_f32 v18, v19, 2.0, -v14
	v_lshlrev_b32_sdwa v19, v40, v41 dst_sel:DWORD dst_unused:UNUSED_PAD src0_sel:DWORD src1_sel:BYTE_0
	v_mul_u32_u24_e32 v20, 0x480, v39
	v_fma_f32 v9, v9, 2.0, -v6
	v_fma_f32 v10, v10, 2.0, -v7
	v_add3_u32 v19, 0, v20, v19
	ds_write2_b64 v19, v[9:10], v[17:18] offset1:36
	ds_write2_b64 v19, v[6:7], v[13:14] offset0:72 offset1:108
	v_sub_f32_e32 v17, v15, v22
	v_sub_f32_e32 v18, v16, v28
	v_sub_f32_e32 v14, v24, v42
	v_sub_f32_e32 v13, v21, v43
	v_fma_f32 v9, v15, 2.0, -v17
	v_fma_f32 v10, v16, 2.0, -v18
	;; [unrolled: 1-line block ×4, first 2 shown]
	v_add_f32_e32 v13, v17, v13
	v_sub_f32_e32 v14, v18, v14
	v_sub_f32_e32 v6, v9, v6
	;; [unrolled: 1-line block ×3, first 2 shown]
	v_fma_f32 v15, v17, 2.0, -v13
	v_fma_f32 v16, v18, 2.0, -v14
	v_mul_u32_u24_e32 v17, 0x480, v33
	v_lshlrev_b32_e32 v18, 3, v34
	v_lshrrev_b32_e32 v33, 23, v4
	v_fma_f32 v9, v9, 2.0, -v6
	v_fma_f32 v10, v10, 2.0, -v7
	v_add3_u32 v17, 0, v17, v18
	v_mul_lo_u16_e32 v4, 0x90, v33
	ds_write2_b64 v17, v[9:10], v[15:16] offset1:36
	ds_write2_b64 v17, v[6:7], v[13:14] offset0:72 offset1:108
	v_sub_f32_e32 v13, v11, v27
	v_sub_f32_e32 v14, v12, v25
	v_sub_u16_e32 v1, v1, v4
	v_fma_f32 v9, v11, 2.0, -v13
	v_fma_f32 v10, v12, 2.0, -v14
	v_sub_f32_e32 v12, v26, v44
	v_sub_f32_e32 v11, v23, v29
	v_mul_u32_u24_e32 v4, 3, v1
	v_lshrrev_b32_e32 v34, 23, v36
	v_fma_f32 v6, v26, 2.0, -v12
	v_fma_f32 v7, v23, 2.0, -v11
	v_lshlrev_b32_e32 v23, 3, v4
	v_mul_lo_u16_e32 v4, 0x90, v34
	v_sub_f32_e32 v6, v9, v6
	v_sub_f32_e32 v7, v10, v7
	v_add_f32_e32 v11, v13, v11
	v_sub_f32_e32 v12, v14, v12
	v_mul_u32_u24_e32 v15, 0x480, v37
	v_lshlrev_b32_e32 v16, 3, v38
	v_sub_u16_e32 v35, v35, v4
	v_fma_f32 v9, v9, 2.0, -v6
	v_fma_f32 v10, v10, 2.0, -v7
	;; [unrolled: 1-line block ×4, first 2 shown]
	v_add3_u32 v15, 0, v15, v16
	v_mul_u32_u24_e32 v4, 3, v35
	ds_write2_b64 v15, v[9:10], v[13:14] offset1:36
	ds_write2_b64 v15, v[6:7], v[11:12] offset0:72 offset1:108
	s_waitcnt lgkmcnt(0)
	s_barrier
	global_load_dwordx2 v[6:7], v23, s[8:9] offset:1120
	v_lshlrev_b32_e32 v24, 3, v4
	global_load_dwordx2 v[29:30], v24, s[8:9] offset:1120
	v_add_u32_e32 v4, 0xffffff70, v0
	v_cndmask_b32_e32 v36, v4, v0, vcc
	v_mul_i32_i24_e32 v4, 3, v36
	v_lshlrev_b64 v[9:10], 3, v[4:5]
	v_mov_b32_e32 v37, s9
	v_add_co_u32_e32 v21, vcc, s8, v9
	v_addc_co_u32_e32 v22, vcc, v37, v10, vcc
	global_load_dwordx2 v[31:32], v[21:22], off offset:1120
	global_load_dwordx4 v[9:12], v24, s[8:9] offset:1104
	global_load_dwordx4 v[13:16], v23, s[8:9] offset:1104
	global_load_dwordx4 v[17:20], v[21:22], off offset:1104
	ds_read2st64_b64 v[21:24], v8 offset0:30 offset1:33
	ds_read2st64_b64 v[25:28], v8 offset0:24 offset1:27
	v_cmp_lt_u32_e32 vcc, s5, v0
	v_lshlrev_b32_e32 v1, 3, v1
	s_movk_i32 s5, 0x23d0
	s_waitcnt vmcnt(5) lgkmcnt(1)
	v_mul_f32_e32 v4, v22, v7
	v_mul_f32_e32 v7, v21, v7
	v_fmac_f32_e32 v4, v21, v6
	v_fma_f32 v38, v22, v6, -v7
	s_waitcnt vmcnt(4)
	v_mul_f32_e32 v39, v24, v30
	v_mul_f32_e32 v6, v23, v30
	v_fmac_f32_e32 v39, v23, v29
	v_fma_f32 v29, v24, v29, -v6
	ds_read2st64_b64 v[21:24], v8 offset0:12 offset1:15
	s_waitcnt vmcnt(3) lgkmcnt(1)
	v_mul_f32_e32 v6, v32, v28
	v_fmac_f32_e32 v6, v31, v27
	v_mul_f32_e32 v7, v32, v27
	s_waitcnt vmcnt(2)
	v_mul_f32_e32 v27, v26, v12
	v_mul_f32_e32 v12, v25, v12
	v_fmac_f32_e32 v27, v25, v11
	v_fma_f32 v25, v26, v11, -v12
	s_waitcnt lgkmcnt(0)
	v_mul_f32_e32 v26, v24, v10
	v_mul_f32_e32 v10, v23, v10
	v_fmac_f32_e32 v26, v23, v9
	v_fma_f32 v23, v24, v9, -v10
	ds_read2st64_b64 v[9:12], v8 offset0:18 offset1:21
	s_waitcnt vmcnt(1)
	v_mul_f32_e32 v24, v14, v22
	v_mul_f32_e32 v14, v14, v21
	v_fma_f32 v7, v31, v28, -v7
	v_fmac_f32_e32 v24, v13, v21
	s_waitcnt lgkmcnt(0)
	v_mul_f32_e32 v30, v16, v12
	v_fmac_f32_e32 v30, v15, v11
	v_mul_f32_e32 v11, v16, v11
	v_fma_f32 v28, v13, v22, -v14
	v_fma_f32 v31, v15, v12, -v11
	ds_read2st64_b64 v[11:14], v8 offset0:6 offset1:9
	s_waitcnt vmcnt(0)
	v_mul_f32_e32 v15, v20, v10
	v_fmac_f32_e32 v15, v19, v9
	v_mul_f32_e32 v9, v20, v9
	v_fma_f32 v9, v19, v10, -v9
	ds_read2st64_b64 v[19:22], v8 offset1:3
	s_waitcnt lgkmcnt(1)
	v_mul_f32_e32 v10, v18, v14
	v_fmac_f32_e32 v10, v17, v13
	v_mul_f32_e32 v13, v18, v13
	v_fma_f32 v13, v17, v14, -v13
	s_waitcnt lgkmcnt(0)
	v_sub_f32_e32 v15, v19, v15
	v_sub_f32_e32 v16, v20, v9
	;; [unrolled: 1-line block ×4, first 2 shown]
	v_fma_f32 v6, v10, 2.0, -v14
	v_fma_f32 v7, v13, 2.0, -v17
	;; [unrolled: 1-line block ×4, first 2 shown]
	v_add_f32_e32 v13, v15, v17
	v_mov_b32_e32 v17, 0x1200
	v_sub_f32_e32 v6, v9, v6
	v_sub_f32_e32 v7, v10, v7
	;; [unrolled: 1-line block ×3, first 2 shown]
	v_cndmask_b32_e32 v17, 0, v17, vcc
	v_lshlrev_b32_e32 v18, 3, v36
	v_fma_f32 v9, v9, 2.0, -v6
	v_fma_f32 v10, v10, 2.0, -v7
	;; [unrolled: 1-line block ×4, first 2 shown]
	v_add3_u32 v17, 0, v17, v18
	s_barrier
	ds_write2_b64 v17, v[9:10], v[15:16] offset1:144
	v_add_u32_e32 v9, 0x800, v17
	ds_write2_b64 v9, v[6:7], v[13:14] offset0:32 offset1:176
	v_sub_f32_e32 v15, v21, v30
	v_sub_f32_e32 v16, v22, v31
	;; [unrolled: 1-line block ×4, first 2 shown]
	v_fma_f32 v9, v21, 2.0, -v15
	v_fma_f32 v10, v22, 2.0, -v16
	;; [unrolled: 1-line block ×4, first 2 shown]
	v_sub_f32_e32 v6, v9, v6
	v_sub_f32_e32 v7, v10, v7
	v_add_f32_e32 v13, v15, v13
	v_sub_f32_e32 v14, v16, v4
	v_mul_u32_u24_e32 v4, 0x1200, v33
	v_fma_f32 v9, v9, 2.0, -v6
	v_fma_f32 v10, v10, 2.0, -v7
	;; [unrolled: 1-line block ×4, first 2 shown]
	v_add3_u32 v1, 0, v4, v1
	ds_write2_b64 v1, v[9:10], v[15:16] offset1:144
	v_add_u32_e32 v1, 0x800, v1
	ds_write2_b64 v1, v[6:7], v[13:14] offset0:32 offset1:176
	v_sub_f32_e32 v1, v11, v27
	v_sub_f32_e32 v4, v12, v25
	v_fma_f32 v9, v11, 2.0, -v1
	v_fma_f32 v10, v12, 2.0, -v4
	v_sub_f32_e32 v12, v26, v39
	v_sub_f32_e32 v11, v23, v29
	v_fma_f32 v6, v26, 2.0, -v12
	v_fma_f32 v7, v23, 2.0, -v11
	v_add_f32_e32 v11, v1, v11
	v_sub_f32_e32 v12, v4, v12
	v_sub_f32_e32 v6, v9, v6
	;; [unrolled: 1-line block ×3, first 2 shown]
	v_fma_f32 v13, v1, 2.0, -v11
	v_fma_f32 v14, v4, 2.0, -v12
	v_mul_u32_u24_e32 v1, 0x1200, v34
	v_lshlrev_b32_e32 v4, 3, v35
	v_fma_f32 v9, v9, 2.0, -v6
	v_fma_f32 v10, v10, 2.0, -v7
	v_add3_u32 v1, 0, v1, v4
	ds_write2_b64 v1, v[9:10], v[13:14] offset1:144
	v_add_u32_e32 v1, 0x800, v1
	ds_write2_b64 v1, v[6:7], v[11:12] offset0:32 offset1:176
	v_mul_u32_u24_e32 v1, 3, v0
	v_lshlrev_b32_e32 v1, 3, v1
	v_add_co_u32_e32 v1, vcc, s8, v1
	v_addc_co_u32_e32 v4, vcc, 0, v37, vcc
	v_add_co_u32_e32 v6, vcc, s5, v1
	v_addc_co_u32_e32 v7, vcc, 0, v4, vcc
	s_movk_i32 s5, 0x35d0
	v_add_co_u32_e32 v9, vcc, s5, v1
	s_waitcnt lgkmcnt(0)
	s_barrier
	global_load_dwordx2 v[6:7], v[6:7], off offset:16
	v_addc_co_u32_e32 v10, vcc, 0, v4, vcc
	global_load_dwordx2 v[29:30], v[9:10], off offset:16
	s_movk_i32 s5, 0x11d0
	v_add_co_u32_e32 v9, vcc, s5, v1
	v_addc_co_u32_e32 v10, vcc, 0, v4, vcc
	s_movk_i32 s5, 0x3000
	global_load_dwordx2 v[31:32], v[9:10], off offset:16
	v_add_co_u32_e32 v9, vcc, s5, v1
	v_addc_co_u32_e32 v10, vcc, 0, v4, vcc
	global_load_dwordx4 v[9:12], v[9:10], off offset:1488
	s_movk_i32 s5, 0x2000
	v_add_co_u32_e32 v13, vcc, s5, v1
	v_addc_co_u32_e32 v14, vcc, 0, v4, vcc
	global_load_dwordx4 v[13:16], v[13:14], off offset:976
	v_add_co_u32_e32 v17, vcc, s4, v1
	v_addc_co_u32_e32 v18, vcc, 0, v4, vcc
	global_load_dwordx4 v[17:20], v[17:18], off offset:464
	ds_read2st64_b64 v[21:24], v8 offset0:30 offset1:33
	ds_read2st64_b64 v[25:28], v8 offset0:24 offset1:27
	s_waitcnt vmcnt(5) lgkmcnt(1)
	v_mul_f32_e32 v1, v22, v7
	v_mul_f32_e32 v4, v21, v7
	v_fmac_f32_e32 v1, v21, v6
	v_fma_f32 v4, v22, v6, -v4
	s_waitcnt vmcnt(4)
	v_mul_f32_e32 v33, v24, v30
	v_mul_f32_e32 v6, v23, v30
	v_fmac_f32_e32 v33, v23, v29
	v_fma_f32 v29, v24, v29, -v6
	ds_read2st64_b64 v[21:24], v8 offset0:12 offset1:15
	s_waitcnt vmcnt(3) lgkmcnt(1)
	v_mul_f32_e32 v6, v32, v28
	v_fmac_f32_e32 v6, v31, v27
	v_mul_f32_e32 v7, v32, v27
	v_fma_f32 v7, v31, v28, -v7
	s_waitcnt vmcnt(2)
	v_mul_f32_e32 v27, v26, v12
	v_mul_f32_e32 v12, v25, v12
	v_fmac_f32_e32 v27, v25, v11
	v_fma_f32 v25, v26, v11, -v12
	s_waitcnt lgkmcnt(0)
	v_mul_f32_e32 v26, v24, v10
	v_mul_f32_e32 v10, v23, v10
	v_fmac_f32_e32 v26, v23, v9
	v_fma_f32 v23, v24, v9, -v10
	ds_read2st64_b64 v[9:12], v8 offset0:18 offset1:21
	s_waitcnt vmcnt(1)
	v_mul_f32_e32 v24, v14, v22
	v_mul_f32_e32 v14, v14, v21
	v_fmac_f32_e32 v24, v13, v21
	v_fma_f32 v28, v13, v22, -v14
	s_waitcnt lgkmcnt(0)
	v_mul_f32_e32 v30, v16, v12
	v_fmac_f32_e32 v30, v15, v11
	v_mul_f32_e32 v11, v16, v11
	v_fma_f32 v15, v15, v12, -v11
	s_waitcnt vmcnt(0)
	v_mul_f32_e32 v16, v20, v10
	ds_read2st64_b64 v[11:14], v8 offset0:6 offset1:9
	v_fmac_f32_e32 v16, v19, v9
	v_mul_f32_e32 v9, v20, v9
	v_fma_f32 v9, v19, v10, -v9
	ds_read2st64_b64 v[19:22], v8 offset1:3
	s_waitcnt lgkmcnt(1)
	v_mul_f32_e32 v10, v18, v14
	v_fmac_f32_e32 v10, v17, v13
	v_mul_f32_e32 v13, v18, v13
	v_fma_f32 v13, v17, v14, -v13
	s_waitcnt lgkmcnt(0)
	v_sub_f32_e32 v18, v20, v9
	v_fma_f32 v14, v20, 2.0, -v18
	v_sub_f32_e32 v20, v13, v7
	v_sub_f32_e32 v17, v19, v16
	v_fma_f32 v7, v13, 2.0, -v20
	v_sub_f32_e32 v30, v21, v30
	;; [unrolled: 3-line block ×3, first 2 shown]
	v_sub_f32_e32 v7, v14, v7
	v_sub_f32_e32 v1, v24, v1
	;; [unrolled: 1-line block ×3, first 2 shown]
	v_fma_f32 v15, v21, 2.0, -v30
	v_fma_f32 v16, v22, 2.0, -v31
	v_fma_f32 v6, v10, 2.0, -v19
	v_fma_f32 v10, v14, 2.0, -v7
	v_fma_f32 v13, v24, 2.0, -v1
	v_fma_f32 v14, v28, 2.0, -v4
	v_sub_f32_e32 v6, v9, v6
	v_sub_f32_e32 v13, v15, v13
	;; [unrolled: 1-line block ×3, first 2 shown]
	v_fma_f32 v9, v9, 2.0, -v6
	v_fma_f32 v15, v15, 2.0, -v13
	;; [unrolled: 1-line block ×3, first 2 shown]
	s_barrier
	ds_write2st64_b64 v8, v[9:10], v[15:16] offset1:3
	ds_write2st64_b64 v8, v[6:7], v[13:14] offset0:18 offset1:21
	v_sub_f32_e32 v21, v11, v27
	v_sub_f32_e32 v22, v12, v25
	;; [unrolled: 1-line block ×4, first 2 shown]
	v_fma_f32 v13, v11, 2.0, -v21
	v_fma_f32 v14, v12, 2.0, -v22
	v_fma_f32 v11, v26, 2.0, -v16
	v_fma_f32 v12, v23, 2.0, -v15
	v_add_f32_e32 v6, v17, v20
	v_sub_f32_e32 v7, v18, v19
	v_sub_f32_e32 v11, v13, v11
	;; [unrolled: 1-line block ×3, first 2 shown]
	v_fma_f32 v9, v17, 2.0, -v6
	v_fma_f32 v10, v18, 2.0, -v7
	;; [unrolled: 1-line block ×4, first 2 shown]
	ds_write2st64_b64 v8, v[13:14], v[9:10] offset0:6 offset1:9
	v_add_f32_e32 v9, v30, v4
	v_sub_f32_e32 v10, v31, v1
	v_add_f32_e32 v15, v21, v15
	v_sub_f32_e32 v16, v22, v16
	v_fma_f32 v13, v30, 2.0, -v9
	v_fma_f32 v14, v31, 2.0, -v10
	;; [unrolled: 1-line block ×4, first 2 shown]
	ds_write2st64_b64 v8, v[13:14], v[17:18] offset0:12 offset1:15
	ds_write2st64_b64 v8, v[11:12], v[6:7] offset0:24 offset1:27
	;; [unrolled: 1-line block ×3, first 2 shown]
	s_waitcnt lgkmcnt(0)
	s_barrier
	s_and_saveexec_b64 s[4:5], s[0:1]
	s_cbranch_execz .LBB0_19
; %bb.18:
	v_lshl_add_u32 v10, v0, 3, 0
	v_mov_b32_e32 v1, v5
	ds_read2st64_b64 v[6:9], v10 offset1:3
	v_mov_b32_e32 v4, s3
	v_add_co_u32_e32 v11, vcc, s2, v2
	v_lshlrev_b64 v[1:2], 3, v[0:1]
	v_addc_co_u32_e32 v3, vcc, v4, v3, vcc
	v_add_co_u32_e32 v1, vcc, v11, v1
	v_addc_co_u32_e32 v2, vcc, v3, v2, vcc
	v_add_u32_e32 v4, 0xc0, v0
	s_waitcnt lgkmcnt(0)
	global_store_dwordx2 v[1:2], v[6:7], off
	v_lshlrev_b64 v[1:2], 3, v[4:5]
	v_add_u32_e32 v4, 0x180, v0
	v_add_co_u32_e32 v1, vcc, v11, v1
	v_addc_co_u32_e32 v2, vcc, v3, v2, vcc
	global_store_dwordx2 v[1:2], v[8:9], off
	ds_read2st64_b64 v[6:9], v10 offset0:6 offset1:9
	v_lshlrev_b64 v[1:2], 3, v[4:5]
	v_add_u32_e32 v4, 0x240, v0
	v_add_co_u32_e32 v1, vcc, v11, v1
	v_addc_co_u32_e32 v2, vcc, v3, v2, vcc
	s_waitcnt lgkmcnt(0)
	global_store_dwordx2 v[1:2], v[6:7], off
	v_lshlrev_b64 v[1:2], 3, v[4:5]
	v_add_u32_e32 v4, 0x300, v0
	v_add_co_u32_e32 v1, vcc, v11, v1
	v_addc_co_u32_e32 v2, vcc, v3, v2, vcc
	global_store_dwordx2 v[1:2], v[8:9], off
	ds_read2st64_b64 v[6:9], v10 offset0:12 offset1:15
	v_lshlrev_b64 v[1:2], 3, v[4:5]
	v_add_u32_e32 v4, 0x3c0, v0
	v_add_co_u32_e32 v1, vcc, v11, v1
	v_addc_co_u32_e32 v2, vcc, v3, v2, vcc
	;; [unrolled: 12-line block ×5, first 2 shown]
	s_waitcnt lgkmcnt(0)
	global_store_dwordx2 v[1:2], v[6:7], off
	v_lshlrev_b64 v[0:1], 3, v[4:5]
	v_add_co_u32_e32 v0, vcc, v11, v0
	v_addc_co_u32_e32 v1, vcc, v3, v1, vcc
	global_store_dwordx2 v[0:1], v[8:9], off
.LBB0_19:
	s_endpgm
	.section	.rodata,"a",@progbits
	.p2align	6, 0x0
	.amdhsa_kernel fft_rtc_back_len2304_factors_6_6_4_4_4_wgs_192_tpt_192_halfLds_sp_ip_CI_unitstride_sbrr_C2R_dirReg
		.amdhsa_group_segment_fixed_size 0
		.amdhsa_private_segment_fixed_size 0
		.amdhsa_kernarg_size 88
		.amdhsa_user_sgpr_count 6
		.amdhsa_user_sgpr_private_segment_buffer 1
		.amdhsa_user_sgpr_dispatch_ptr 0
		.amdhsa_user_sgpr_queue_ptr 0
		.amdhsa_user_sgpr_kernarg_segment_ptr 1
		.amdhsa_user_sgpr_dispatch_id 0
		.amdhsa_user_sgpr_flat_scratch_init 0
		.amdhsa_user_sgpr_private_segment_size 0
		.amdhsa_uses_dynamic_stack 0
		.amdhsa_system_sgpr_private_segment_wavefront_offset 0
		.amdhsa_system_sgpr_workgroup_id_x 1
		.amdhsa_system_sgpr_workgroup_id_y 0
		.amdhsa_system_sgpr_workgroup_id_z 0
		.amdhsa_system_sgpr_workgroup_info 0
		.amdhsa_system_vgpr_workitem_id 0
		.amdhsa_next_free_vgpr 45
		.amdhsa_next_free_sgpr 22
		.amdhsa_reserve_vcc 1
		.amdhsa_reserve_flat_scratch 0
		.amdhsa_float_round_mode_32 0
		.amdhsa_float_round_mode_16_64 0
		.amdhsa_float_denorm_mode_32 3
		.amdhsa_float_denorm_mode_16_64 3
		.amdhsa_dx10_clamp 1
		.amdhsa_ieee_mode 1
		.amdhsa_fp16_overflow 0
		.amdhsa_exception_fp_ieee_invalid_op 0
		.amdhsa_exception_fp_denorm_src 0
		.amdhsa_exception_fp_ieee_div_zero 0
		.amdhsa_exception_fp_ieee_overflow 0
		.amdhsa_exception_fp_ieee_underflow 0
		.amdhsa_exception_fp_ieee_inexact 0
		.amdhsa_exception_int_div_zero 0
	.end_amdhsa_kernel
	.text
.Lfunc_end0:
	.size	fft_rtc_back_len2304_factors_6_6_4_4_4_wgs_192_tpt_192_halfLds_sp_ip_CI_unitstride_sbrr_C2R_dirReg, .Lfunc_end0-fft_rtc_back_len2304_factors_6_6_4_4_4_wgs_192_tpt_192_halfLds_sp_ip_CI_unitstride_sbrr_C2R_dirReg
                                        ; -- End function
	.section	.AMDGPU.csdata,"",@progbits
; Kernel info:
; codeLenInByte = 7084
; NumSgprs: 26
; NumVgprs: 45
; ScratchSize: 0
; MemoryBound: 0
; FloatMode: 240
; IeeeMode: 1
; LDSByteSize: 0 bytes/workgroup (compile time only)
; SGPRBlocks: 3
; VGPRBlocks: 11
; NumSGPRsForWavesPerEU: 26
; NumVGPRsForWavesPerEU: 45
; Occupancy: 5
; WaveLimiterHint : 1
; COMPUTE_PGM_RSRC2:SCRATCH_EN: 0
; COMPUTE_PGM_RSRC2:USER_SGPR: 6
; COMPUTE_PGM_RSRC2:TRAP_HANDLER: 0
; COMPUTE_PGM_RSRC2:TGID_X_EN: 1
; COMPUTE_PGM_RSRC2:TGID_Y_EN: 0
; COMPUTE_PGM_RSRC2:TGID_Z_EN: 0
; COMPUTE_PGM_RSRC2:TIDIG_COMP_CNT: 0
	.type	__hip_cuid_992d166f5ad946e,@object ; @__hip_cuid_992d166f5ad946e
	.section	.bss,"aw",@nobits
	.globl	__hip_cuid_992d166f5ad946e
__hip_cuid_992d166f5ad946e:
	.byte	0                               ; 0x0
	.size	__hip_cuid_992d166f5ad946e, 1

	.ident	"AMD clang version 19.0.0git (https://github.com/RadeonOpenCompute/llvm-project roc-6.4.0 25133 c7fe45cf4b819c5991fe208aaa96edf142730f1d)"
	.section	".note.GNU-stack","",@progbits
	.addrsig
	.addrsig_sym __hip_cuid_992d166f5ad946e
	.amdgpu_metadata
---
amdhsa.kernels:
  - .args:
      - .actual_access:  read_only
        .address_space:  global
        .offset:         0
        .size:           8
        .value_kind:     global_buffer
      - .offset:         8
        .size:           8
        .value_kind:     by_value
      - .actual_access:  read_only
        .address_space:  global
        .offset:         16
        .size:           8
        .value_kind:     global_buffer
      - .actual_access:  read_only
        .address_space:  global
        .offset:         24
        .size:           8
        .value_kind:     global_buffer
      - .offset:         32
        .size:           8
        .value_kind:     by_value
      - .actual_access:  read_only
        .address_space:  global
        .offset:         40
        .size:           8
        .value_kind:     global_buffer
      - .actual_access:  read_only
        .address_space:  global
        .offset:         48
        .size:           8
        .value_kind:     global_buffer
      - .offset:         56
        .size:           4
        .value_kind:     by_value
      - .actual_access:  read_only
        .address_space:  global
        .offset:         64
        .size:           8
        .value_kind:     global_buffer
      - .actual_access:  read_only
        .address_space:  global
        .offset:         72
        .size:           8
        .value_kind:     global_buffer
      - .address_space:  global
        .offset:         80
        .size:           8
        .value_kind:     global_buffer
    .group_segment_fixed_size: 0
    .kernarg_segment_align: 8
    .kernarg_segment_size: 88
    .language:       OpenCL C
    .language_version:
      - 2
      - 0
    .max_flat_workgroup_size: 192
    .name:           fft_rtc_back_len2304_factors_6_6_4_4_4_wgs_192_tpt_192_halfLds_sp_ip_CI_unitstride_sbrr_C2R_dirReg
    .private_segment_fixed_size: 0
    .sgpr_count:     26
    .sgpr_spill_count: 0
    .symbol:         fft_rtc_back_len2304_factors_6_6_4_4_4_wgs_192_tpt_192_halfLds_sp_ip_CI_unitstride_sbrr_C2R_dirReg.kd
    .uniform_work_group_size: 1
    .uses_dynamic_stack: false
    .vgpr_count:     45
    .vgpr_spill_count: 0
    .wavefront_size: 64
amdhsa.target:   amdgcn-amd-amdhsa--gfx906
amdhsa.version:
  - 1
  - 2
...

	.end_amdgpu_metadata
